;; amdgpu-corpus repo=zjin-lcf/HeCBench kind=compiled arch=gfx1250 opt=O3
	.amdgcn_target "amdgcn-amd-amdhsa--gfx1250"
	.amdhsa_code_object_version 6
	.text
	.protected	_Z8SSSP_gpuPK4NodePK4EdgePiS5_PKiS5_S7_S5_S5_S5_S7_S5_ ; -- Begin function _Z8SSSP_gpuPK4NodePK4EdgePiS5_PKiS5_S7_S5_S5_S5_S7_S5_
	.globl	_Z8SSSP_gpuPK4NodePK4EdgePiS5_PKiS5_S7_S5_S5_S5_S7_S5_
	.p2align	8
	.type	_Z8SSSP_gpuPK4NodePK4EdgePiS5_PKiS5_S7_S5_S5_S5_S7_S5_,@function
_Z8SSSP_gpuPK4NodePK4EdgePiS5_PKiS5_S7_S5_S5_S5_S7_S5_: ; @_Z8SSSP_gpuPK4NodePK4EdgePiS5_PKiS5_S7_S5_S5_S5_S7_S5_
; %bb.0:
	s_clause 0x5
	s_load_b256 s[4:11], s[0:1], 0x30
	s_load_b128 s[12:15], s[0:1], 0x50
	s_load_b64 s[20:21], s[0:1], 0x0
	s_load_b128 s[16:19], s[0:1], 0x10
	s_load_b64 s[22:23], s[0:1], 0x20
	s_load_b32 s3, s[0:1], 0x6c
	v_cmp_eq_u32_e64 s2, 0, v0
	s_wait_kmcnt 0x0
	s_load_b32 s24, s[4:5], 0x0
	s_load_b32 s25, s[12:13], 0x0
	s_and_b32 s3, s3, 0xffff
	s_wait_xcnt 0x0
	s_and_saveexec_b32 s4, s2
	s_cbranch_execz .LBB0_4
; %bb.1:
	s_mov_b32 s5, exec_lo
	v_mov_b32_e32 v2, 0
	v_mbcnt_lo_u32_b32 v1, s5, 0
	s_mov_b32 s12, exec_lo
                                        ; implicit-def: $vgpr3
	ds_store_b32 v2, v2 offset:6408
	v_cmpx_eq_u32_e32 0, v1
	s_cbranch_execz .LBB0_3
; %bb.2:
	s_bcnt1_i32_b32 s5, s5
	s_delay_alu instid0(SALU_CYCLE_1) | instskip(NEXT) | instid1(SALU_CYCLE_1)
	s_mul_i32 s5, s3, s5
	v_mov_b32_e32 v3, s5
	global_atomic_add_u32 v3, v2, v3, s[6:7] th:TH_ATOMIC_RETURN scope:SCOPE_DEV
.LBB0_3:
	s_wait_xcnt 0x0
	s_or_b32 exec_lo, exec_lo, s12
	s_wait_loadcnt 0x0
	v_readfirstlane_b32 s5, v3
	s_delay_alu instid0(VALU_DEP_1)
	v_mad_u32_u24 v1, s3, v1, s5
	ds_store_b32 v2, v1 offset:6404
.LBB0_4:
	s_or_b32 exec_lo, exec_lo, s4
	v_mov_b32_e32 v1, 0
	s_clause 0x1
	s_load_b64 s[12:13], s[0:1], 0x8
	s_load_b64 s[4:5], s[0:1], 0x28
	s_wait_dscnt 0x0
	s_barrier_signal -1
	s_barrier_wait -1
	ds_load_b32 v6, v1 offset:6404
	s_wait_dscnt 0x0
	s_wait_kmcnt 0x0
	v_cmp_le_i32_e32 vcc_lo, s24, v6
	s_cbranch_vccnz .LBB0_47
; %bb.5:
	v_dual_add_nc_u32 v8, 1, v0 :: v_dual_lshlrev_b32 v9, 2, v0
	v_dual_mov_b32 v10, 0xfe7965 :: v_dual_mov_b32 v11, 1
	s_cmp_eq_u32 s3, 1
	s_mov_b32 s1, 0
	s_cselect_b32 s26, -1, 0
	s_lshl_b32 s0, s3, 2
	s_add_nc_u64 s[12:13], s[12:13], 4
	s_branch .LBB0_8
.LBB0_6:                                ;   in Loop: Header=BB0_8 Depth=1
	s_wait_xcnt 0x0
	s_or_b32 exec_lo, exec_lo, s28
	s_wait_loadcnt 0x0
	v_readfirstlane_b32 s28, v3
	s_delay_alu instid0(VALU_DEP_1)
	v_mad_u32_u24 v2, s3, v2, s28
	ds_store_b32 v1, v2 offset:6404
.LBB0_7:                                ;   in Loop: Header=BB0_8 Depth=1
	s_or_b32 exec_lo, exec_lo, s27
	s_wait_storecnt_dscnt 0x0
	s_barrier_signal -1
	s_barrier_wait -1
	ds_load_b32 v6, v1 offset:6404
	s_wait_dscnt 0x0
	v_cmp_gt_i32_e32 vcc_lo, s24, v6
	s_cbranch_vccz .LBB0_47
.LBB0_8:                                ; =>This Loop Header: Depth=1
                                        ;     Child Loop BB0_17 Depth 2
                                        ;     Child Loop BB0_21 Depth 2
	;; [unrolled: 1-line block ×4, first 2 shown]
	ds_load_b32 v2, v1 offset:6408
	s_wait_dscnt 0x0
	v_cmp_gt_i32_e32 vcc_lo, 0x320, v2
	s_cbranch_vccnz .LBB0_31
; %bb.9:                                ;   in Loop: Header=BB0_8 Depth=1
	s_and_saveexec_b32 s27, s2
	s_cbranch_execz .LBB0_13
; %bb.10:                               ;   in Loop: Header=BB0_8 Depth=1
	s_mov_b32 s29, exec_lo
	s_mov_b32 s28, exec_lo
	v_mbcnt_lo_u32_b32 v3, s29, 0
                                        ; implicit-def: $vgpr4
	s_delay_alu instid0(VALU_DEP_1)
	v_cmpx_eq_u32_e32 0, v3
	s_cbranch_execz .LBB0_12
; %bb.11:                               ;   in Loop: Header=BB0_8 Depth=1
	s_bcnt1_i32_b32 s29, s29
	s_delay_alu instid0(SALU_CYCLE_1)
	v_mul_lo_u32 v4, v2, s29
	global_atomic_add_u32 v4, v1, v4, s[8:9] th:TH_ATOMIC_RETURN scope:SCOPE_DEV
.LBB0_12:                               ;   in Loop: Header=BB0_8 Depth=1
	s_wait_xcnt 0x0
	s_or_b32 exec_lo, exec_lo, s28
	s_wait_loadcnt 0x0
	v_readfirstlane_b32 s28, v4
	s_delay_alu instid0(VALU_DEP_1)
	v_mad_u32 v2, v2, v3, s28
	ds_store_b32 v1, v2 offset:6400
.LBB0_13:                               ;   in Loop: Header=BB0_8 Depth=1
	s_or_b32 exec_lo, exec_lo, s27
	s_wait_dscnt 0x0
	s_barrier_signal -1
	s_barrier_wait -1
	ds_load_b32 v7, v1 offset:6408
	s_mov_b32 s27, exec_lo
	s_wait_dscnt 0x0
	v_cmpx_lt_i32_e64 v0, v7
	s_cbranch_execz .LBB0_28
; %bb.14:                               ;   in Loop: Header=BB0_8 Depth=1
	ds_load_b32 v2, v1 offset:6400
	v_dual_mov_b32 v4, v0 :: v_dual_max_i32 v3, v7, v8
	s_mov_b32 s29, -1
	s_delay_alu instid0(VALU_DEP_1) | instskip(NEXT) | instid1(VALU_DEP_1)
	v_dual_mov_b32 v12, v9 :: v_dual_sub_nc_u32 v3, v3, v0
	v_cmp_lt_u32_e32 vcc_lo, 1, v3
	s_and_b32 s30, vcc_lo, s26
	s_delay_alu instid0(SALU_CYCLE_1)
	s_and_saveexec_b32 s28, s30
	s_cbranch_execz .LBB0_25
; %bb.15:                               ;   in Loop: Header=BB0_8 Depth=1
	v_dual_add_nc_u32 v4, -2, v3 :: v_dual_mov_b32 v14, 0
	s_delay_alu instid0(VALU_DEP_1) | instskip(SKIP_1) | instid1(VALU_DEP_2)
	v_lshrrev_b32_e32 v5, 1, v4
	v_cmp_lt_u32_e32 vcc_lo, 13, v4
	v_add_nc_u32_e32 v4, 1, v5
	s_and_saveexec_b32 s29, vcc_lo
	s_cbranch_execz .LBB0_19
; %bb.16:                               ;   in Loop: Header=BB0_8 Depth=1
	s_wait_dscnt 0x0
	s_delay_alu instid0(VALU_DEP_1)
	v_dual_add_nc_u32 v12, v0, v2 :: v_dual_bitop2_b32 v5, -8, v4 bitop3:0x40
	v_mov_b32_e32 v13, v9
	s_mov_b32 s30, 0
	s_mov_b32 s31, 0
.LBB0_17:                               ;   Parent Loop BB0_8 Depth=1
                                        ; =>  This Inner Loop Header: Depth=2
	ds_load_2addr_b32 v[18:19], v13 offset1:1
	ds_load_2addr_b32 v[20:21], v13 offset0:2 offset1:3
	ds_load_2addr_b32 v[22:23], v13 offset0:4 offset1:5
	;; [unrolled: 1-line block ×7, first 2 shown]
	v_dual_add_nc_u32 v16, s31, v12 :: v_dual_add_nc_u32 v13, 64, v13
	s_add_co_i32 s31, s31, 16
	s_delay_alu instid0(SALU_CYCLE_1) | instskip(NEXT) | instid1(VALU_DEP_2)
	v_dual_mov_b32 v14, s31 :: v_dual_add_nc_u32 v5, -8, v5
	v_dual_ashrrev_i32 v17, 31, v16 :: v_dual_add_nc_u32 v34, 2, v16
	v_dual_add_nc_u32 v36, 4, v16 :: v_dual_add_nc_u32 v38, 6, v16
	v_dual_add_nc_u32 v40, 8, v16 :: v_dual_add_nc_u32 v42, 10, v16
	v_dual_add_nc_u32 v44, 12, v16 :: v_dual_add_nc_u32 v46, 14, v16
	s_delay_alu instid0(VALU_DEP_3) | instskip(SKIP_1) | instid1(VALU_DEP_4)
	v_dual_ashrrev_i32 v35, 31, v34 :: v_dual_ashrrev_i32 v37, 31, v36
	v_cmp_eq_u32_e32 vcc_lo, 0, v5
	v_dual_ashrrev_i32 v39, 31, v38 :: v_dual_ashrrev_i32 v41, 31, v40
	v_lshl_add_u64 v[16:17], v[16:17], 2, s[4:5]
	v_dual_ashrrev_i32 v43, 31, v42 :: v_dual_ashrrev_i32 v45, 31, v44
	v_ashrrev_i32_e32 v47, 31, v46
	v_lshl_add_u64 v[34:35], v[34:35], 2, s[4:5]
	v_lshl_add_u64 v[36:37], v[36:37], 2, s[4:5]
	s_or_b32 s30, vcc_lo, s30
	v_lshl_add_u64 v[38:39], v[38:39], 2, s[4:5]
	v_lshl_add_u64 v[40:41], v[40:41], 2, s[4:5]
	;; [unrolled: 1-line block ×5, first 2 shown]
	s_wait_dscnt 0x7
	global_store_b64 v[16:17], v[18:19], off
	s_wait_dscnt 0x6
	global_store_b64 v[34:35], v[20:21], off
	;; [unrolled: 2-line block ×8, first 2 shown]
	s_wait_xcnt 0x0
	s_and_not1_b32 exec_lo, exec_lo, s30
	s_cbranch_execnz .LBB0_17
; %bb.18:                               ;   in Loop: Header=BB0_8 Depth=1
	s_or_b32 exec_lo, exec_lo, s30
.LBB0_19:                               ;   in Loop: Header=BB0_8 Depth=1
	s_delay_alu instid0(SALU_CYCLE_1) | instskip(NEXT) | instid1(VALU_DEP_1)
	s_or_b32 exec_lo, exec_lo, s29
	v_and_b32_e32 v5, 7, v4
	s_mov_b32 s29, exec_lo
	s_delay_alu instid0(VALU_DEP_1)
	v_cmpx_ne_u32_e32 0, v5
	s_cbranch_execz .LBB0_22
; %bb.20:                               ;   in Loop: Header=BB0_8 Depth=1
	v_dual_add_nc_u32 v12, v0, v14 :: v_dual_lshlrev_b32 v13, 2, v5
	s_mov_b32 s30, 0
	s_wait_dscnt 0x0
	s_delay_alu instid0(VALU_DEP_1)
	v_dual_add_nc_u32 v4, v12, v2 :: v_dual_lshlrev_b32 v12, 2, v12
.LBB0_21:                               ;   Parent Loop BB0_8 Depth=1
                                        ; =>  This Inner Loop Header: Depth=2
	ds_load_2addr_b32 v[14:15], v12 offset1:1
	v_dual_add_nc_u32 v13, -4, v13 :: v_dual_ashrrev_i32 v5, 31, v4
	v_add_nc_u32_e32 v12, 8, v12
	s_delay_alu instid0(VALU_DEP_2) | instskip(NEXT) | instid1(VALU_DEP_3)
	v_cmp_eq_u32_e32 vcc_lo, 0, v13
	v_lshl_add_u64 v[16:17], v[4:5], 2, s[4:5]
	v_add_nc_u32_e32 v4, 2, v4
	s_or_b32 s30, vcc_lo, s30
	s_wait_dscnt 0x0
	global_store_b64 v[16:17], v[14:15], off
	s_wait_xcnt 0x0
	s_and_not1_b32 exec_lo, exec_lo, s30
	s_cbranch_execnz .LBB0_21
.LBB0_22:                               ;   in Loop: Header=BB0_8 Depth=1
	s_or_b32 exec_lo, exec_lo, s29
	v_and_b32_e32 v5, -2, v3
	s_mov_b32 s29, 0
	s_mov_b32 s30, exec_lo
                                        ; implicit-def: $vgpr4
                                        ; implicit-def: $vgpr12
	s_delay_alu instid0(VALU_DEP_1)
	v_cmpx_ne_u32_e64 v3, v5
; %bb.23:                               ;   in Loop: Header=BB0_8 Depth=1
	v_add_nc_u32_e32 v4, v0, v5
	s_mov_b32 s29, exec_lo
	s_delay_alu instid0(VALU_DEP_1)
	v_lshlrev_b32_e32 v12, 2, v4
; %bb.24:                               ;   in Loop: Header=BB0_8 Depth=1
	s_or_b32 exec_lo, exec_lo, s30
	s_delay_alu instid0(SALU_CYCLE_1)
	s_or_not1_b32 s29, s29, exec_lo
.LBB0_25:                               ;   in Loop: Header=BB0_8 Depth=1
	s_or_b32 exec_lo, exec_lo, s28
	s_delay_alu instid0(SALU_CYCLE_1)
	s_and_b32 exec_lo, exec_lo, s29
	s_cbranch_execz .LBB0_28
; %bb.26:                               ;   in Loop: Header=BB0_8 Depth=1
	s_wait_dscnt 0x0
	v_dual_ashrrev_i32 v5, 31, v4 :: v_dual_ashrrev_i32 v3, 31, v2
	s_mov_b32 s28, 0
	s_delay_alu instid0(VALU_DEP_1) | instskip(NEXT) | instid1(VALU_DEP_1)
	v_add_nc_u64_e32 v[2:3], v[4:5], v[2:3]
	v_lshl_add_u64 v[2:3], v[2:3], 2, s[4:5]
.LBB0_27:                               ;   Parent Loop BB0_8 Depth=1
                                        ; =>  This Inner Loop Header: Depth=2
	ds_load_b32 v5, v12
	v_add_nc_u32_e32 v4, s3, v4
	v_add_nc_u32_e32 v12, s0, v12
	s_delay_alu instid0(VALU_DEP_2)
	v_cmp_ge_i32_e32 vcc_lo, v4, v7
	s_or_b32 s28, vcc_lo, s28
	s_wait_dscnt 0x0
	global_store_b32 v[2:3], v5, off
	s_wait_xcnt 0x0
	v_add_nc_u64_e32 v[2:3], s[0:1], v[2:3]
	s_and_not1_b32 exec_lo, exec_lo, s28
	s_cbranch_execnz .LBB0_27
.LBB0_28:                               ;   in Loop: Header=BB0_8 Depth=1
	s_or_b32 exec_lo, exec_lo, s27
	s_wait_storecnt_dscnt 0x0
	s_barrier_signal -1
	s_barrier_wait -1
	s_and_saveexec_b32 s27, s2
; %bb.29:                               ;   in Loop: Header=BB0_8 Depth=1
	ds_store_b32 v1, v1 offset:6408
; %bb.30:                               ;   in Loop: Header=BB0_8 Depth=1
	s_or_b32 exec_lo, exec_lo, s27
	s_wait_dscnt 0x0
	s_barrier_signal -1
	s_barrier_wait -1
.LBB0_31:                               ;   in Loop: Header=BB0_8 Depth=1
	v_add_nc_u32_e32 v2, v6, v0
	s_mov_b32 s27, exec_lo
	s_delay_alu instid0(VALU_DEP_1)
	v_cmpx_gt_i32_e64 s24, v2
	s_cbranch_execz .LBB0_44
; %bb.32:                               ;   in Loop: Header=BB0_8 Depth=1
	global_load_b32 v3, v1, s[10:11]
	s_wait_loadcnt 0x0
	v_cmp_ne_u32_e32 vcc_lo, 0, v3
	s_cbranch_vccnz .LBB0_44
; %bb.33:                               ;   in Loop: Header=BB0_8 Depth=1
	global_load_b32 v4, v2, s[22:23] scale_offset
	s_wait_xcnt 0x0
	s_wait_loadcnt 0x0
	s_clause 0x1
	global_atomic_swap_b32 v4, v10, s[18:19] scale_offset scope:SCOPE_DEV
	global_load_b64 v[2:3], v4, s[20:21] scale_offset
	s_wait_loadcnt 0x0
	v_cmp_lt_i32_e32 vcc_lo, 0, v3
	s_wait_xcnt 0x0
	s_and_b32 exec_lo, exec_lo, vcc_lo
	s_cbranch_execz .LBB0_44
; %bb.34:                               ;   in Loop: Header=BB0_8 Depth=1
	v_dual_ashrrev_i32 v5, 31, v4 :: v_dual_add_nc_u32 v13, v3, v2
	v_ashrrev_i32_e32 v3, 31, v2
	s_mov_b32 s28, 0
	s_delay_alu instid0(VALU_DEP_2)
	v_lshl_add_u64 v[4:5], v[4:5], 2, s[16:17]
	global_load_b32 v12, v[4:5], off
	s_wait_xcnt 0x0
	v_lshl_add_u64 v[4:5], v[2:3], 3, s[12:13]
	s_branch .LBB0_36
.LBB0_35:                               ;   in Loop: Header=BB0_36 Depth=2
	s_wait_xcnt 0x0
	s_or_b32 exec_lo, exec_lo, s29
	v_add_nc_u32_e32 v2, 1, v2
	v_add_nc_u64_e32 v[4:5], 8, v[4:5]
	s_delay_alu instid0(VALU_DEP_2) | instskip(SKIP_1) | instid1(SALU_CYCLE_1)
	v_cmp_ge_i32_e32 vcc_lo, v2, v13
	s_or_b32 s28, vcc_lo, s28
	s_and_not1_b32 exec_lo, exec_lo, s28
	s_cbranch_execz .LBB0_44
.LBB0_36:                               ;   Parent Loop BB0_8 Depth=1
                                        ; =>  This Inner Loop Header: Depth=2
	global_load_b64 v[6:7], v[4:5], off offset:-4
	s_mov_b32 s29, exec_lo
	s_wait_loadcnt 0x0
	v_add_nc_u32_e32 v3, v7, v12
	s_wait_xcnt 0x0
	global_atomic_max_i32 v7, v6, v3, s[16:17] scale_offset th:TH_ATOMIC_RETURN scope:SCOPE_DEV
	s_wait_loadcnt 0x0
	s_wait_xcnt 0x0
	v_cmpx_lt_i32_e64 v7, v3
	s_cbranch_execz .LBB0_35
; %bb.37:                               ;   in Loop: Header=BB0_36 Depth=2
	v_dual_ashrrev_i32 v7, 31, v6 :: v_dual_mov_b32 v3, s25
	s_delay_alu instid0(VALU_DEP_1)
	v_lshl_add_u64 v[14:15], v[6:7], 2, s[18:19]
	global_atomic_max_i32 v3, v[14:15], v3, off th:TH_ATOMIC_RETURN scope:SCOPE_DEV
	s_wait_loadcnt 0x0
	v_cmp_ne_u32_e32 vcc_lo, s25, v3
	s_wait_xcnt 0x0
	s_and_b32 exec_lo, exec_lo, vcc_lo
	s_cbranch_execz .LBB0_35
; %bb.38:                               ;   in Loop: Header=BB0_36 Depth=2
	s_mov_b32 s31, exec_lo
	s_mov_b32 s30, exec_lo
	v_mbcnt_lo_u32_b32 v3, s31, 0
                                        ; implicit-def: $vgpr7
	s_delay_alu instid0(VALU_DEP_1)
	v_cmpx_eq_u32_e32 0, v3
; %bb.39:                               ;   in Loop: Header=BB0_36 Depth=2
	s_bcnt1_i32_b32 s31, s31
	s_delay_alu instid0(SALU_CYCLE_1)
	v_mov_b32_e32 v7, s31
	ds_add_rtn_u32 v7, v1, v7 offset:6408
; %bb.40:                               ;   in Loop: Header=BB0_36 Depth=2
	s_or_b32 exec_lo, exec_lo, s30
	s_wait_dscnt 0x0
	v_readfirstlane_b32 s30, v7
	s_delay_alu instid0(VALU_DEP_1) | instskip(SKIP_1) | instid1(VALU_DEP_1)
	v_add_nc_u32_e32 v3, s30, v3
	s_mov_b32 s30, exec_lo
	v_cmpx_gt_i32_e32 0x640, v3
	s_xor_b32 s30, exec_lo, s30
; %bb.41:                               ;   in Loop: Header=BB0_36 Depth=2
	v_lshlrev_b32_e32 v3, 2, v3
	ds_store_b32 v3, v6
; %bb.42:                               ;   in Loop: Header=BB0_36 Depth=2
	s_and_not1_saveexec_b32 s30, s30
	s_cbranch_execz .LBB0_35
; %bb.43:                               ;   in Loop: Header=BB0_36 Depth=2
	global_store_b32 v1, v11, s[10:11]
	s_branch .LBB0_35
.LBB0_44:                               ;   in Loop: Header=BB0_8 Depth=1
	s_or_b32 exec_lo, exec_lo, s27
	s_and_saveexec_b32 s27, s2
	s_cbranch_execz .LBB0_7
; %bb.45:                               ;   in Loop: Header=BB0_8 Depth=1
	s_mov_b32 s29, exec_lo
	s_mov_b32 s28, exec_lo
	v_mbcnt_lo_u32_b32 v2, s29, 0
                                        ; implicit-def: $vgpr3
	s_delay_alu instid0(VALU_DEP_1)
	v_cmpx_eq_u32_e32 0, v2
	s_cbranch_execz .LBB0_6
; %bb.46:                               ;   in Loop: Header=BB0_8 Depth=1
	s_bcnt1_i32_b32 s29, s29
	s_delay_alu instid0(SALU_CYCLE_1) | instskip(NEXT) | instid1(SALU_CYCLE_1)
	s_mul_i32 s29, s3, s29
	v_mov_b32_e32 v3, s29
	global_atomic_add_u32 v3, v1, v3, s[6:7] th:TH_ATOMIC_RETURN scope:SCOPE_DEV
	s_branch .LBB0_6
.LBB0_47:
	s_and_saveexec_b32 s0, s2
	s_cbranch_execz .LBB0_51
; %bb.48:
	v_mov_b32_e32 v1, 0
	s_mov_b32 s1, exec_lo
	s_mov_b32 s2, exec_lo
	v_mbcnt_lo_u32_b32 v3, s1, 0
                                        ; implicit-def: $vgpr4
	ds_load_b32 v2, v1 offset:6408
	v_cmpx_eq_u32_e32 0, v3
	s_cbranch_execz .LBB0_50
; %bb.49:
	s_bcnt1_i32_b32 s1, s1
	s_wait_dscnt 0x0
	v_mul_lo_u32 v4, v2, s1
	global_atomic_add_u32 v4, v1, v4, s[8:9] th:TH_ATOMIC_RETURN scope:SCOPE_DEV
.LBB0_50:
	s_wait_xcnt 0x0
	s_or_b32 exec_lo, exec_lo, s2
	s_wait_loadcnt 0x0
	v_readfirstlane_b32 s1, v4
	s_wait_dscnt 0x0
	s_delay_alu instid0(VALU_DEP_1)
	v_mad_u32 v2, v2, v3, s1
	ds_store_b32 v1, v2 offset:6400
.LBB0_51:
	s_or_b32 exec_lo, exec_lo, s0
	v_mov_b32_e32 v2, 0
	s_wait_dscnt 0x0
	s_barrier_signal -1
	s_barrier_wait -1
	ds_load_b32 v1, v2 offset:6408
	s_mov_b32 s2, exec_lo
	s_wait_dscnt 0x0
	v_cmpx_lt_i32_e64 v0, v1
	s_cbranch_execz .LBB0_64
; %bb.52:
	ds_load_b32 v2, v2 offset:6400
	v_add_max_i32_e64 v3, v0, 1, v1
	s_and_b32 s0, s3, 0xffff
	s_mov_b32 s1, -1
	s_cmp_eq_u32 s0, 1
	s_delay_alu instid0(VALU_DEP_1) | instskip(SKIP_1) | instid1(VALU_DEP_1)
	v_dual_mov_b32 v4, v0 :: v_dual_sub_nc_u32 v3, v3, v0
	s_cselect_b32 s0, -1, 0
	v_cmp_lt_u32_e32 vcc_lo, 1, v3
	s_and_b32 s6, vcc_lo, s0
	s_delay_alu instid0(SALU_CYCLE_1)
	s_and_saveexec_b32 s0, s6
	s_cbranch_execz .LBB0_61
; %bb.53:
	v_dual_add_nc_u32 v4, -2, v3 :: v_dual_mov_b32 v8, 0
	s_delay_alu instid0(VALU_DEP_1) | instskip(SKIP_1) | instid1(VALU_DEP_2)
	v_lshrrev_b32_e32 v5, 1, v4
	v_cmp_lt_u32_e32 vcc_lo, 13, v4
	v_add_nc_u32_e32 v4, 1, v5
	s_and_saveexec_b32 s1, vcc_lo
	s_cbranch_execz .LBB0_57
; %bb.54:
	s_wait_dscnt 0x0
	s_delay_alu instid0(VALU_DEP_1)
	v_dual_add_nc_u32 v6, v0, v2 :: v_dual_bitop2_b32 v5, -8, v4 bitop3:0x40
	v_lshlrev_b32_e32 v7, 2, v0
	s_mov_b32 s6, 0
	s_mov_b32 s7, 0
.LBB0_55:                               ; =>This Inner Loop Header: Depth=1
	ds_load_2addr_b32 v[12:13], v7 offset1:1
	ds_load_2addr_b32 v[14:15], v7 offset0:2 offset1:3
	ds_load_2addr_b32 v[16:17], v7 offset0:4 offset1:5
	;; [unrolled: 1-line block ×7, first 2 shown]
	v_dual_add_nc_u32 v10, s7, v6 :: v_dual_add_nc_u32 v7, 64, v7
	s_add_co_i32 s7, s7, 16
	s_delay_alu instid0(SALU_CYCLE_1) | instskip(NEXT) | instid1(VALU_DEP_2)
	v_dual_mov_b32 v8, s7 :: v_dual_add_nc_u32 v5, -8, v5
	v_dual_ashrrev_i32 v11, 31, v10 :: v_dual_add_nc_u32 v28, 2, v10
	v_dual_add_nc_u32 v30, 4, v10 :: v_dual_add_nc_u32 v32, 6, v10
	v_dual_add_nc_u32 v34, 8, v10 :: v_dual_add_nc_u32 v36, 10, v10
	;; [unrolled: 1-line block ×3, first 2 shown]
	s_delay_alu instid0(VALU_DEP_3) | instskip(SKIP_1) | instid1(VALU_DEP_4)
	v_dual_ashrrev_i32 v29, 31, v28 :: v_dual_ashrrev_i32 v31, 31, v30
	v_cmp_eq_u32_e32 vcc_lo, 0, v5
	v_dual_ashrrev_i32 v33, 31, v32 :: v_dual_ashrrev_i32 v35, 31, v34
	v_lshl_add_u64 v[10:11], v[10:11], 2, s[4:5]
	v_dual_ashrrev_i32 v37, 31, v36 :: v_dual_ashrrev_i32 v39, 31, v38
	v_ashrrev_i32_e32 v41, 31, v40
	v_lshl_add_u64 v[28:29], v[28:29], 2, s[4:5]
	v_lshl_add_u64 v[30:31], v[30:31], 2, s[4:5]
	s_or_b32 s6, vcc_lo, s6
	v_lshl_add_u64 v[32:33], v[32:33], 2, s[4:5]
	v_lshl_add_u64 v[34:35], v[34:35], 2, s[4:5]
	;; [unrolled: 1-line block ×5, first 2 shown]
	s_wait_dscnt 0x7
	global_store_b64 v[10:11], v[12:13], off
	s_wait_dscnt 0x6
	global_store_b64 v[28:29], v[14:15], off
	;; [unrolled: 2-line block ×8, first 2 shown]
	s_wait_xcnt 0x0
	s_and_not1_b32 exec_lo, exec_lo, s6
	s_cbranch_execnz .LBB0_55
; %bb.56:
	s_or_b32 exec_lo, exec_lo, s6
.LBB0_57:
	s_delay_alu instid0(SALU_CYCLE_1) | instskip(NEXT) | instid1(VALU_DEP_1)
	s_or_b32 exec_lo, exec_lo, s1
	v_and_b32_e32 v5, 7, v4
	s_mov_b32 s6, 0
	s_mov_b32 s1, exec_lo
	s_delay_alu instid0(VALU_DEP_1)
	v_cmpx_ne_u32_e32 0, v5
	s_cbranch_execz .LBB0_60
; %bb.58:
	v_dual_add_nc_u32 v6, v0, v8 :: v_dual_lshlrev_b32 v7, 2, v5
	s_wait_dscnt 0x0
	s_delay_alu instid0(VALU_DEP_1)
	v_add_nc_u32_e32 v4, v6, v2
	v_lshlrev_b32_e32 v6, 2, v6
.LBB0_59:                               ; =>This Inner Loop Header: Depth=1
	ds_load_2addr_b32 v[8:9], v6 offset1:1
	v_dual_add_nc_u32 v7, -4, v7 :: v_dual_ashrrev_i32 v5, 31, v4
	v_add_nc_u32_e32 v6, 8, v6
	s_delay_alu instid0(VALU_DEP_2) | instskip(NEXT) | instid1(VALU_DEP_3)
	v_cmp_eq_u32_e32 vcc_lo, 0, v7
	v_lshl_add_u64 v[10:11], v[4:5], 2, s[4:5]
	v_add_nc_u32_e32 v4, 2, v4
	s_or_b32 s6, vcc_lo, s6
	s_wait_dscnt 0x0
	global_store_b64 v[10:11], v[8:9], off
	s_wait_xcnt 0x0
	s_and_not1_b32 exec_lo, exec_lo, s6
	s_cbranch_execnz .LBB0_59
.LBB0_60:
	s_or_b32 exec_lo, exec_lo, s1
	v_and_b32_e32 v4, -2, v3
	s_delay_alu instid0(VALU_DEP_1)
	v_cmp_ne_u32_e32 vcc_lo, v3, v4
	v_add_nc_u32_e32 v4, v0, v4
	s_or_not1_b32 s1, vcc_lo, exec_lo
.LBB0_61:
	s_or_b32 exec_lo, exec_lo, s0
	s_delay_alu instid0(SALU_CYCLE_1)
	s_and_b32 exec_lo, exec_lo, s1
	s_cbranch_execz .LBB0_64
; %bb.62:
	s_wait_dscnt 0x0
	v_dual_ashrrev_i32 v5, 31, v4 :: v_dual_ashrrev_i32 v3, 31, v2
	s_mov_b32 s1, 0
	s_lshl_b32 s0, s3, 2
	s_delay_alu instid0(VALU_DEP_1) | instskip(SKIP_1) | instid1(VALU_DEP_2)
	v_add_nc_u64_e32 v[2:3], v[4:5], v[2:3]
	v_lshlrev_b32_e32 v5, 2, v4
	v_lshl_add_u64 v[2:3], v[2:3], 2, s[4:5]
	s_mov_b32 s4, s1
.LBB0_63:                               ; =>This Inner Loop Header: Depth=1
	ds_load_b32 v6, v5
	v_dual_add_nc_u32 v4, s3, v4 :: v_dual_add_nc_u32 v5, s0, v5
	s_delay_alu instid0(VALU_DEP_1)
	v_cmp_ge_i32_e32 vcc_lo, v4, v1
	s_or_b32 s4, vcc_lo, s4
	s_wait_dscnt 0x0
	global_store_b32 v[2:3], v6, off
	s_wait_xcnt 0x0
	v_add_nc_u64_e32 v[2:3], s[0:1], v[2:3]
	s_and_not1_b32 exec_lo, exec_lo, s4
	s_cbranch_execnz .LBB0_63
.LBB0_64:
	s_or_b32 exec_lo, exec_lo, s2
	s_bfe_u32 s0, ttmp6, 0x4000c
	s_and_b32 s1, ttmp6, 15
	s_add_co_i32 s0, s0, 1
	s_getreg_b32 s2, hwreg(HW_REG_IB_STS2, 6, 4)
	s_mul_i32 s0, ttmp9, s0
	v_sub_nc_u32_e32 v0, 0, v0
	s_add_co_i32 s1, s1, s0
	s_cmp_eq_u32 s2, 0
	s_cselect_b32 s0, ttmp9, s1
	s_delay_alu instid0(SALU_CYCLE_1) | instskip(NEXT) | instid1(SALU_CYCLE_1)
	s_mul_i32 s0, s0, s3
	v_cmp_eq_u32_e32 vcc_lo, s0, v0
	s_and_saveexec_b32 s0, vcc_lo
	s_cbranch_execz .LBB0_67
; %bb.65:
	s_mov_b32 s0, exec_lo
	s_delay_alu instid0(SALU_CYCLE_1) | instskip(NEXT) | instid1(VALU_DEP_1)
	v_mbcnt_lo_u32_b32 v0, s0, 0
	v_cmp_eq_u32_e32 vcc_lo, 0, v0
	s_and_b32 s1, exec_lo, vcc_lo
	s_delay_alu instid0(SALU_CYCLE_1)
	s_mov_b32 exec_lo, s1
	s_cbranch_execz .LBB0_67
; %bb.66:
	s_bcnt1_i32_b32 s0, s0
	s_delay_alu instid0(SALU_CYCLE_1)
	v_dual_mov_b32 v0, 0 :: v_dual_mov_b32 v1, s0
	global_atomic_add_u32 v0, v1, s[14:15] scope:SCOPE_DEV
.LBB0_67:
	s_endpgm
	.section	.rodata,"a",@progbits
	.p2align	6, 0x0
	.amdhsa_kernel _Z8SSSP_gpuPK4NodePK4EdgePiS5_PKiS5_S7_S5_S5_S5_S7_S5_
		.amdhsa_group_segment_fixed_size 6412
		.amdhsa_private_segment_fixed_size 0
		.amdhsa_kernarg_size 352
		.amdhsa_user_sgpr_count 2
		.amdhsa_user_sgpr_dispatch_ptr 0
		.amdhsa_user_sgpr_queue_ptr 0
		.amdhsa_user_sgpr_kernarg_segment_ptr 1
		.amdhsa_user_sgpr_dispatch_id 0
		.amdhsa_user_sgpr_kernarg_preload_length 0
		.amdhsa_user_sgpr_kernarg_preload_offset 0
		.amdhsa_user_sgpr_private_segment_size 0
		.amdhsa_wavefront_size32 1
		.amdhsa_uses_dynamic_stack 0
		.amdhsa_enable_private_segment 0
		.amdhsa_system_sgpr_workgroup_id_x 1
		.amdhsa_system_sgpr_workgroup_id_y 0
		.amdhsa_system_sgpr_workgroup_id_z 0
		.amdhsa_system_sgpr_workgroup_info 0
		.amdhsa_system_vgpr_workitem_id 0
		.amdhsa_next_free_vgpr 48
		.amdhsa_next_free_sgpr 32
		.amdhsa_named_barrier_count 0
		.amdhsa_reserve_vcc 1
		.amdhsa_float_round_mode_32 0
		.amdhsa_float_round_mode_16_64 0
		.amdhsa_float_denorm_mode_32 3
		.amdhsa_float_denorm_mode_16_64 3
		.amdhsa_fp16_overflow 0
		.amdhsa_memory_ordered 1
		.amdhsa_forward_progress 1
		.amdhsa_inst_pref_size 24
		.amdhsa_round_robin_scheduling 0
		.amdhsa_exception_fp_ieee_invalid_op 0
		.amdhsa_exception_fp_denorm_src 0
		.amdhsa_exception_fp_ieee_div_zero 0
		.amdhsa_exception_fp_ieee_overflow 0
		.amdhsa_exception_fp_ieee_underflow 0
		.amdhsa_exception_fp_ieee_inexact 0
		.amdhsa_exception_int_div_zero 0
	.end_amdhsa_kernel
	.text
.Lfunc_end0:
	.size	_Z8SSSP_gpuPK4NodePK4EdgePiS5_PKiS5_S7_S5_S5_S5_S7_S5_, .Lfunc_end0-_Z8SSSP_gpuPK4NodePK4EdgePiS5_PKiS5_S7_S5_S5_S5_S7_S5_
                                        ; -- End function
	.set _Z8SSSP_gpuPK4NodePK4EdgePiS5_PKiS5_S7_S5_S5_S5_S7_S5_.num_vgpr, 48
	.set _Z8SSSP_gpuPK4NodePK4EdgePiS5_PKiS5_S7_S5_S5_S5_S7_S5_.num_agpr, 0
	.set _Z8SSSP_gpuPK4NodePK4EdgePiS5_PKiS5_S7_S5_S5_S5_S7_S5_.numbered_sgpr, 32
	.set _Z8SSSP_gpuPK4NodePK4EdgePiS5_PKiS5_S7_S5_S5_S5_S7_S5_.num_named_barrier, 0
	.set _Z8SSSP_gpuPK4NodePK4EdgePiS5_PKiS5_S7_S5_S5_S5_S7_S5_.private_seg_size, 0
	.set _Z8SSSP_gpuPK4NodePK4EdgePiS5_PKiS5_S7_S5_S5_S5_S7_S5_.uses_vcc, 1
	.set _Z8SSSP_gpuPK4NodePK4EdgePiS5_PKiS5_S7_S5_S5_S5_S7_S5_.uses_flat_scratch, 0
	.set _Z8SSSP_gpuPK4NodePK4EdgePiS5_PKiS5_S7_S5_S5_S5_S7_S5_.has_dyn_sized_stack, 0
	.set _Z8SSSP_gpuPK4NodePK4EdgePiS5_PKiS5_S7_S5_S5_S5_S7_S5_.has_recursion, 0
	.set _Z8SSSP_gpuPK4NodePK4EdgePiS5_PKiS5_S7_S5_S5_S5_S7_S5_.has_indirect_call, 0
	.section	.AMDGPU.csdata,"",@progbits
; Kernel info:
; codeLenInByte = 3056
; TotalNumSgprs: 34
; NumVgprs: 48
; ScratchSize: 0
; MemoryBound: 0
; FloatMode: 240
; IeeeMode: 1
; LDSByteSize: 6412 bytes/workgroup (compile time only)
; SGPRBlocks: 0
; VGPRBlocks: 2
; NumSGPRsForWavesPerEU: 34
; NumVGPRsForWavesPerEU: 48
; NamedBarCnt: 0
; Occupancy: 16
; WaveLimiterHint : 1
; COMPUTE_PGM_RSRC2:SCRATCH_EN: 0
; COMPUTE_PGM_RSRC2:USER_SGPR: 2
; COMPUTE_PGM_RSRC2:TRAP_HANDLER: 0
; COMPUTE_PGM_RSRC2:TGID_X_EN: 1
; COMPUTE_PGM_RSRC2:TGID_Y_EN: 0
; COMPUTE_PGM_RSRC2:TGID_Z_EN: 0
; COMPUTE_PGM_RSRC2:TIDIG_COMP_CNT: 0
	.text
	.p2alignl 7, 3214868480
	.fill 96, 4, 3214868480
	.section	.AMDGPU.gpr_maximums,"",@progbits
	.set amdgpu.max_num_vgpr, 0
	.set amdgpu.max_num_agpr, 0
	.set amdgpu.max_num_sgpr, 0
	.text
	.type	__hip_cuid_86761c7e987539dd,@object ; @__hip_cuid_86761c7e987539dd
	.section	.bss,"aw",@nobits
	.globl	__hip_cuid_86761c7e987539dd
__hip_cuid_86761c7e987539dd:
	.byte	0                               ; 0x0
	.size	__hip_cuid_86761c7e987539dd, 1

	.ident	"AMD clang version 22.0.0git (https://github.com/RadeonOpenCompute/llvm-project roc-7.2.4 26084 f58b06dce1f9c15707c5f808fd002e18c2accf7e)"
	.section	".note.GNU-stack","",@progbits
	.addrsig
	.addrsig_sym __hip_cuid_86761c7e987539dd
	.amdgpu_metadata
---
amdhsa.kernels:
  - .args:
      - .actual_access:  read_only
        .address_space:  global
        .offset:         0
        .size:           8
        .value_kind:     global_buffer
      - .actual_access:  read_only
        .address_space:  global
        .offset:         8
        .size:           8
        .value_kind:     global_buffer
      - .address_space:  global
        .offset:         16
        .size:           8
        .value_kind:     global_buffer
      - .address_space:  global
        .offset:         24
        .size:           8
        .value_kind:     global_buffer
      - .actual_access:  read_only
        .address_space:  global
        .offset:         32
        .size:           8
        .value_kind:     global_buffer
      - .actual_access:  write_only
        .address_space:  global
        .offset:         40
        .size:           8
        .value_kind:     global_buffer
      - .actual_access:  read_only
        .address_space:  global
        .offset:         48
        .size:           8
        .value_kind:     global_buffer
      - .address_space:  global
        .offset:         56
        .size:           8
        .value_kind:     global_buffer
      - .address_space:  global
        .offset:         64
        .size:           8
        .value_kind:     global_buffer
      - .address_space:  global
        .offset:         72
        .size:           8
        .value_kind:     global_buffer
      - .actual_access:  read_only
        .address_space:  global
        .offset:         80
        .size:           8
        .value_kind:     global_buffer
      - .address_space:  global
        .offset:         88
        .size:           8
        .value_kind:     global_buffer
      - .offset:         96
        .size:           4
        .value_kind:     hidden_block_count_x
      - .offset:         100
        .size:           4
        .value_kind:     hidden_block_count_y
      - .offset:         104
        .size:           4
        .value_kind:     hidden_block_count_z
      - .offset:         108
        .size:           2
        .value_kind:     hidden_group_size_x
      - .offset:         110
        .size:           2
        .value_kind:     hidden_group_size_y
      - .offset:         112
        .size:           2
        .value_kind:     hidden_group_size_z
      - .offset:         114
        .size:           2
        .value_kind:     hidden_remainder_x
      - .offset:         116
        .size:           2
        .value_kind:     hidden_remainder_y
      - .offset:         118
        .size:           2
        .value_kind:     hidden_remainder_z
      - .offset:         136
        .size:           8
        .value_kind:     hidden_global_offset_x
      - .offset:         144
        .size:           8
        .value_kind:     hidden_global_offset_y
      - .offset:         152
        .size:           8
        .value_kind:     hidden_global_offset_z
      - .offset:         160
        .size:           2
        .value_kind:     hidden_grid_dims
    .group_segment_fixed_size: 6412
    .kernarg_segment_align: 8
    .kernarg_segment_size: 352
    .language:       OpenCL C
    .language_version:
      - 2
      - 0
    .max_flat_workgroup_size: 1024
    .name:           _Z8SSSP_gpuPK4NodePK4EdgePiS5_PKiS5_S7_S5_S5_S5_S7_S5_
    .private_segment_fixed_size: 0
    .sgpr_count:     34
    .sgpr_spill_count: 0
    .symbol:         _Z8SSSP_gpuPK4NodePK4EdgePiS5_PKiS5_S7_S5_S5_S5_S7_S5_.kd
    .uniform_work_group_size: 1
    .uses_dynamic_stack: false
    .vgpr_count:     48
    .vgpr_spill_count: 0
    .wavefront_size: 32
amdhsa.target:   amdgcn-amd-amdhsa--gfx1250
amdhsa.version:
  - 1
  - 2
...

	.end_amdgpu_metadata
